;; amdgpu-corpus repo=ROCm/rocFFT kind=compiled arch=gfx1030 opt=O3
	.text
	.amdgcn_target "amdgcn-amd-amdhsa--gfx1030"
	.amdhsa_code_object_version 6
	.protected	fft_rtc_fwd_len1500_factors_5_10_10_3_wgs_150_tpt_150_halfLds_dp_ip_CI_unitstride_sbrr_R2C_dirReg ; -- Begin function fft_rtc_fwd_len1500_factors_5_10_10_3_wgs_150_tpt_150_halfLds_dp_ip_CI_unitstride_sbrr_R2C_dirReg
	.globl	fft_rtc_fwd_len1500_factors_5_10_10_3_wgs_150_tpt_150_halfLds_dp_ip_CI_unitstride_sbrr_R2C_dirReg
	.p2align	8
	.type	fft_rtc_fwd_len1500_factors_5_10_10_3_wgs_150_tpt_150_halfLds_dp_ip_CI_unitstride_sbrr_R2C_dirReg,@function
fft_rtc_fwd_len1500_factors_5_10_10_3_wgs_150_tpt_150_halfLds_dp_ip_CI_unitstride_sbrr_R2C_dirReg: ; @fft_rtc_fwd_len1500_factors_5_10_10_3_wgs_150_tpt_150_halfLds_dp_ip_CI_unitstride_sbrr_R2C_dirReg
; %bb.0:
	s_clause 0x2
	s_load_dwordx4 s[8:11], s[4:5], 0x0
	s_load_dwordx2 s[2:3], s[4:5], 0x50
	s_load_dwordx2 s[12:13], s[4:5], 0x18
	v_mul_u32_u24_e32 v1, 0x1b5, v0
	v_mov_b32_e32 v3, 0
	v_add_nc_u32_sdwa v5, s6, v1 dst_sel:DWORD dst_unused:UNUSED_PAD src0_sel:DWORD src1_sel:WORD_1
	v_mov_b32_e32 v1, 0
	v_mov_b32_e32 v6, v3
	v_mov_b32_e32 v2, 0
	s_waitcnt lgkmcnt(0)
	v_cmp_lt_u64_e64 s0, s[10:11], 2
	s_and_b32 vcc_lo, exec_lo, s0
	s_cbranch_vccnz .LBB0_8
; %bb.1:
	s_load_dwordx2 s[0:1], s[4:5], 0x10
	v_mov_b32_e32 v1, 0
	s_add_u32 s6, s12, 8
	v_mov_b32_e32 v2, 0
	s_addc_u32 s7, s13, 0
	s_mov_b64 s[16:17], 1
	s_waitcnt lgkmcnt(0)
	s_add_u32 s14, s0, 8
	s_addc_u32 s15, s1, 0
.LBB0_2:                                ; =>This Inner Loop Header: Depth=1
	s_load_dwordx2 s[18:19], s[14:15], 0x0
                                        ; implicit-def: $vgpr7_vgpr8
	s_mov_b32 s0, exec_lo
	s_waitcnt lgkmcnt(0)
	v_or_b32_e32 v4, s19, v6
	v_cmpx_ne_u64_e32 0, v[3:4]
	s_xor_b32 s1, exec_lo, s0
	s_cbranch_execz .LBB0_4
; %bb.3:                                ;   in Loop: Header=BB0_2 Depth=1
	v_cvt_f32_u32_e32 v4, s18
	v_cvt_f32_u32_e32 v7, s19
	s_sub_u32 s0, 0, s18
	s_subb_u32 s20, 0, s19
	v_fmac_f32_e32 v4, 0x4f800000, v7
	v_rcp_f32_e32 v4, v4
	v_mul_f32_e32 v4, 0x5f7ffffc, v4
	v_mul_f32_e32 v7, 0x2f800000, v4
	v_trunc_f32_e32 v7, v7
	v_fmac_f32_e32 v4, 0xcf800000, v7
	v_cvt_u32_f32_e32 v7, v7
	v_cvt_u32_f32_e32 v4, v4
	v_mul_lo_u32 v8, s0, v7
	v_mul_hi_u32 v9, s0, v4
	v_mul_lo_u32 v10, s20, v4
	v_add_nc_u32_e32 v8, v9, v8
	v_mul_lo_u32 v9, s0, v4
	v_add_nc_u32_e32 v8, v8, v10
	v_mul_hi_u32 v10, v4, v9
	v_mul_lo_u32 v11, v4, v8
	v_mul_hi_u32 v12, v4, v8
	v_mul_hi_u32 v13, v7, v9
	v_mul_lo_u32 v9, v7, v9
	v_mul_hi_u32 v14, v7, v8
	v_mul_lo_u32 v8, v7, v8
	v_add_co_u32 v10, vcc_lo, v10, v11
	v_add_co_ci_u32_e32 v11, vcc_lo, 0, v12, vcc_lo
	v_add_co_u32 v9, vcc_lo, v10, v9
	v_add_co_ci_u32_e32 v9, vcc_lo, v11, v13, vcc_lo
	v_add_co_ci_u32_e32 v10, vcc_lo, 0, v14, vcc_lo
	v_add_co_u32 v8, vcc_lo, v9, v8
	v_add_co_ci_u32_e32 v9, vcc_lo, 0, v10, vcc_lo
	v_add_co_u32 v4, vcc_lo, v4, v8
	v_add_co_ci_u32_e32 v7, vcc_lo, v7, v9, vcc_lo
	v_mul_hi_u32 v8, s0, v4
	v_mul_lo_u32 v10, s20, v4
	v_mul_lo_u32 v9, s0, v7
	v_add_nc_u32_e32 v8, v8, v9
	v_mul_lo_u32 v9, s0, v4
	v_add_nc_u32_e32 v8, v8, v10
	v_mul_hi_u32 v10, v4, v9
	v_mul_lo_u32 v11, v4, v8
	v_mul_hi_u32 v12, v4, v8
	v_mul_hi_u32 v13, v7, v9
	v_mul_lo_u32 v9, v7, v9
	v_mul_hi_u32 v14, v7, v8
	v_mul_lo_u32 v8, v7, v8
	v_add_co_u32 v10, vcc_lo, v10, v11
	v_add_co_ci_u32_e32 v11, vcc_lo, 0, v12, vcc_lo
	v_add_co_u32 v9, vcc_lo, v10, v9
	v_add_co_ci_u32_e32 v9, vcc_lo, v11, v13, vcc_lo
	v_add_co_ci_u32_e32 v10, vcc_lo, 0, v14, vcc_lo
	v_add_co_u32 v8, vcc_lo, v9, v8
	v_add_co_ci_u32_e32 v9, vcc_lo, 0, v10, vcc_lo
	v_add_co_u32 v4, vcc_lo, v4, v8
	v_add_co_ci_u32_e32 v11, vcc_lo, v7, v9, vcc_lo
	v_mul_hi_u32 v13, v5, v4
	v_mad_u64_u32 v[9:10], null, v6, v4, 0
	v_mad_u64_u32 v[7:8], null, v5, v11, 0
	;; [unrolled: 1-line block ×3, first 2 shown]
	v_add_co_u32 v4, vcc_lo, v13, v7
	v_add_co_ci_u32_e32 v7, vcc_lo, 0, v8, vcc_lo
	v_add_co_u32 v4, vcc_lo, v4, v9
	v_add_co_ci_u32_e32 v4, vcc_lo, v7, v10, vcc_lo
	v_add_co_ci_u32_e32 v7, vcc_lo, 0, v12, vcc_lo
	v_add_co_u32 v4, vcc_lo, v4, v11
	v_add_co_ci_u32_e32 v9, vcc_lo, 0, v7, vcc_lo
	v_mul_lo_u32 v10, s19, v4
	v_mad_u64_u32 v[7:8], null, s18, v4, 0
	v_mul_lo_u32 v11, s18, v9
	v_sub_co_u32 v7, vcc_lo, v5, v7
	v_add3_u32 v8, v8, v11, v10
	v_sub_nc_u32_e32 v10, v6, v8
	v_subrev_co_ci_u32_e64 v10, s0, s19, v10, vcc_lo
	v_add_co_u32 v11, s0, v4, 2
	v_add_co_ci_u32_e64 v12, s0, 0, v9, s0
	v_sub_co_u32 v13, s0, v7, s18
	v_sub_co_ci_u32_e32 v8, vcc_lo, v6, v8, vcc_lo
	v_subrev_co_ci_u32_e64 v10, s0, 0, v10, s0
	v_cmp_le_u32_e32 vcc_lo, s18, v13
	v_cmp_eq_u32_e64 s0, s19, v8
	v_cndmask_b32_e64 v13, 0, -1, vcc_lo
	v_cmp_le_u32_e32 vcc_lo, s19, v10
	v_cndmask_b32_e64 v14, 0, -1, vcc_lo
	v_cmp_le_u32_e32 vcc_lo, s18, v7
	;; [unrolled: 2-line block ×3, first 2 shown]
	v_cndmask_b32_e64 v15, 0, -1, vcc_lo
	v_cmp_eq_u32_e32 vcc_lo, s19, v10
	v_cndmask_b32_e64 v7, v15, v7, s0
	v_cndmask_b32_e32 v10, v14, v13, vcc_lo
	v_add_co_u32 v13, vcc_lo, v4, 1
	v_add_co_ci_u32_e32 v14, vcc_lo, 0, v9, vcc_lo
	v_cmp_ne_u32_e32 vcc_lo, 0, v10
	v_cndmask_b32_e32 v8, v14, v12, vcc_lo
	v_cndmask_b32_e32 v10, v13, v11, vcc_lo
	v_cmp_ne_u32_e32 vcc_lo, 0, v7
	v_cndmask_b32_e32 v8, v9, v8, vcc_lo
	v_cndmask_b32_e32 v7, v4, v10, vcc_lo
.LBB0_4:                                ;   in Loop: Header=BB0_2 Depth=1
	s_andn2_saveexec_b32 s0, s1
	s_cbranch_execz .LBB0_6
; %bb.5:                                ;   in Loop: Header=BB0_2 Depth=1
	v_cvt_f32_u32_e32 v4, s18
	s_sub_i32 s1, 0, s18
	v_rcp_iflag_f32_e32 v4, v4
	v_mul_f32_e32 v4, 0x4f7ffffe, v4
	v_cvt_u32_f32_e32 v4, v4
	v_mul_lo_u32 v7, s1, v4
	v_mul_hi_u32 v7, v4, v7
	v_add_nc_u32_e32 v4, v4, v7
	v_mul_hi_u32 v4, v5, v4
	v_mul_lo_u32 v7, v4, s18
	v_add_nc_u32_e32 v8, 1, v4
	v_sub_nc_u32_e32 v7, v5, v7
	v_subrev_nc_u32_e32 v9, s18, v7
	v_cmp_le_u32_e32 vcc_lo, s18, v7
	v_cndmask_b32_e32 v7, v7, v9, vcc_lo
	v_cndmask_b32_e32 v4, v4, v8, vcc_lo
	v_cmp_le_u32_e32 vcc_lo, s18, v7
	v_add_nc_u32_e32 v8, 1, v4
	v_cndmask_b32_e32 v7, v4, v8, vcc_lo
	v_mov_b32_e32 v8, v3
.LBB0_6:                                ;   in Loop: Header=BB0_2 Depth=1
	s_or_b32 exec_lo, exec_lo, s0
	s_load_dwordx2 s[0:1], s[6:7], 0x0
	v_mul_lo_u32 v4, v8, s18
	v_mul_lo_u32 v11, v7, s19
	v_mad_u64_u32 v[9:10], null, v7, s18, 0
	s_add_u32 s16, s16, 1
	s_addc_u32 s17, s17, 0
	s_add_u32 s6, s6, 8
	s_addc_u32 s7, s7, 0
	;; [unrolled: 2-line block ×3, first 2 shown]
	v_add3_u32 v4, v10, v11, v4
	v_sub_co_u32 v5, vcc_lo, v5, v9
	v_sub_co_ci_u32_e32 v4, vcc_lo, v6, v4, vcc_lo
	s_waitcnt lgkmcnt(0)
	v_mul_lo_u32 v6, s1, v5
	v_mul_lo_u32 v4, s0, v4
	v_mad_u64_u32 v[1:2], null, s0, v5, v[1:2]
	v_cmp_ge_u64_e64 s0, s[16:17], s[10:11]
	s_and_b32 vcc_lo, exec_lo, s0
	v_add3_u32 v2, v6, v2, v4
	s_cbranch_vccnz .LBB0_9
; %bb.7:                                ;   in Loop: Header=BB0_2 Depth=1
	v_mov_b32_e32 v5, v7
	v_mov_b32_e32 v6, v8
	s_branch .LBB0_2
.LBB0_8:
	v_mov_b32_e32 v8, v6
	v_mov_b32_e32 v7, v5
.LBB0_9:
	s_lshl_b64 s[0:1], s[10:11], 3
	v_mul_hi_u32 v3, 0x1b4e81c, v0
	s_add_u32 s0, s12, s0
	s_addc_u32 s1, s13, s1
	s_load_dwordx2 s[4:5], s[4:5], 0x20
	s_load_dwordx2 s[0:1], s[0:1], 0x0
	v_mul_u32_u24_e32 v3, 0x96, v3
	v_sub_nc_u32_e32 v48, v0, v3
	v_add_nc_u32_e32 v50, 0x96, v48
	v_add_nc_u32_e32 v55, 0x12c, v48
	;; [unrolled: 1-line block ×3, first 2 shown]
	s_waitcnt lgkmcnt(0)
	v_cmp_gt_u64_e32 vcc_lo, s[4:5], v[7:8]
	v_mul_lo_u32 v3, s0, v8
	v_mul_lo_u32 v4, s1, v7
	v_mad_u64_u32 v[0:1], null, s0, v7, v[1:2]
	v_cmp_le_u64_e64 s0, s[4:5], v[7:8]
	v_add3_u32 v1, v4, v1, v3
	s_and_saveexec_b32 s1, s0
	s_xor_b32 s0, exec_lo, s1
; %bb.10:
	v_add_nc_u32_e32 v50, 0x96, v48
	v_add_nc_u32_e32 v55, 0x12c, v48
	;; [unrolled: 1-line block ×3, first 2 shown]
; %bb.11:
	s_or_saveexec_b32 s1, s0
	v_lshlrev_b64 v[52:53], 4, v[0:1]
	v_lshl_add_u32 v58, v48, 4, 0
	s_xor_b32 exec_lo, exec_lo, s1
	s_cbranch_execz .LBB0_13
; %bb.12:
	v_mov_b32_e32 v49, 0
	v_add_co_u32 v2, s0, s2, v52
	v_add_co_ci_u32_e64 v3, s0, s3, v53, s0
	v_lshlrev_b64 v[0:1], 4, v[48:49]
	v_add_co_u32 v16, s0, v2, v0
	v_add_co_ci_u32_e64 v17, s0, v3, v1, s0
	v_add_co_u32 v4, s0, 0x800, v16
	v_add_co_ci_u32_e64 v5, s0, 0, v17, s0
	v_add_co_u32 v8, s0, 0x1000, v16
	v_add_co_ci_u32_e64 v9, s0, 0, v17, s0
	v_add_co_u32 v12, s0, 0x1800, v16
	v_add_co_ci_u32_e64 v13, s0, 0, v17, s0
	v_add_co_u32 v18, s0, 0x2000, v16
	v_add_co_ci_u32_e64 v19, s0, 0, v17, s0
	v_add_co_u32 v20, s0, 0x2800, v16
	v_add_co_ci_u32_e64 v21, s0, 0, v17, s0
	v_add_co_u32 v24, s0, 0x3800, v16
	v_add_co_ci_u32_e64 v25, s0, 0, v17, s0
	v_add_co_u32 v28, s0, 0x4000, v16
	v_add_co_ci_u32_e64 v29, s0, 0, v17, s0
	v_add_co_u32 v32, s0, 0x4800, v16
	v_add_co_ci_u32_e64 v33, s0, 0, v17, s0
	v_add_co_u32 v36, s0, 0x5000, v16
	v_add_co_ci_u32_e64 v37, s0, 0, v17, s0
	s_clause 0x9
	global_load_dwordx4 v[0:3], v[16:17], off
	global_load_dwordx4 v[4:7], v[4:5], off offset:352
	global_load_dwordx4 v[8:11], v[8:9], off offset:704
	;; [unrolled: 1-line block ×9, first 2 shown]
	s_waitcnt vmcnt(9)
	ds_write_b128 v58, v[0:3]
	s_waitcnt vmcnt(8)
	ds_write_b128 v58, v[4:7] offset:2400
	s_waitcnt vmcnt(7)
	ds_write_b128 v58, v[8:11] offset:4800
	;; [unrolled: 2-line block ×9, first 2 shown]
.LBB0_13:
	s_or_b32 exec_lo, exec_lo, s1
	s_waitcnt lgkmcnt(0)
	s_barrier
	buffer_gl0_inv
	ds_read_b128 v[0:3], v58 offset:4800
	ds_read_b128 v[4:7], v58
	ds_read_b128 v[8:11], v58 offset:2400
	ds_read_b128 v[12:15], v58 offset:7200
	;; [unrolled: 1-line block ×8, first 2 shown]
	s_mov_b32 s0, 0x134454ff
	s_mov_b32 s1, 0x3fee6f0e
	;; [unrolled: 1-line block ×10, first 2 shown]
	s_waitcnt lgkmcnt(0)
	v_add_f64 v[40:41], v[4:5], v[0:1]
	v_add_f64 v[42:43], v[6:7], v[2:3]
	;; [unrolled: 1-line block ×8, first 2 shown]
	v_add_f64 v[67:68], v[0:1], -v[20:21]
	v_add_f64 v[69:70], v[28:29], v[32:33]
	v_add_f64 v[71:72], v[12:13], v[36:37]
	;; [unrolled: 1-line block ×4, first 2 shown]
	v_add_f64 v[77:78], v[20:21], -v[0:1]
	v_add_f64 v[79:80], v[20:21], -v[16:17]
	;; [unrolled: 1-line block ×9, first 2 shown]
	v_add_f64 v[20:21], v[40:41], v[20:21]
	v_add_f64 v[87:88], v[16:17], -v[24:25]
	v_add_f64 v[44:45], v[44:45], v[28:29]
	v_add_f64 v[46:47], v[46:47], v[30:31]
	v_fma_f64 v[56:57], v[56:57], -0.5, v[4:5]
	v_fma_f64 v[4:5], v[59:60], -0.5, v[4:5]
	;; [unrolled: 1-line block ×3, first 2 shown]
	v_add_f64 v[22:23], v[42:43], v[22:23]
	v_add_f64 v[40:41], v[18:19], -v[26:27]
	v_add_f64 v[42:43], v[30:31], -v[34:35]
	v_fma_f64 v[6:7], v[63:64], -0.5, v[6:7]
	v_add_f64 v[61:62], v[12:13], -v[28:29]
	v_add_f64 v[63:64], v[28:29], -v[12:13]
	v_fma_f64 v[69:70], v[69:70], -0.5, v[8:9]
	v_fma_f64 v[8:9], v[71:72], -0.5, v[8:9]
	v_fma_f64 v[71:72], v[73:74], -0.5, v[10:11]
	v_fma_f64 v[10:11], v[75:76], -0.5, v[10:11]
	v_add_f64 v[28:29], v[28:29], -v[32:33]
	v_add_f64 v[73:74], v[14:15], -v[30:31]
	;; [unrolled: 1-line block ×5, first 2 shown]
	v_add_f64 v[16:17], v[20:21], v[16:17]
	v_add_f64 v[20:21], v[32:33], -v[36:37]
	v_add_f64 v[32:33], v[44:45], v[32:33]
	v_add_f64 v[44:45], v[46:47], v[34:35]
	v_fma_f64 v[46:47], v[2:3], s[0:1], v[56:57]
	v_fma_f64 v[56:57], v[2:3], s[4:5], v[56:57]
	v_add_f64 v[12:13], v[12:13], -v[36:37]
	v_add_f64 v[81:82], v[81:82], v[89:90]
	v_fma_f64 v[89:90], v[65:66], s[4:5], v[4:5]
	v_fma_f64 v[4:5], v[65:66], s[0:1], v[4:5]
	v_add_f64 v[67:68], v[67:68], v[85:86]
	v_fma_f64 v[85:86], v[0:1], s[4:5], v[59:60]
	v_fma_f64 v[59:60], v[0:1], s[0:1], v[59:60]
	v_add_f64 v[40:41], v[83:84], v[40:41]
	v_add_f64 v[18:19], v[22:23], v[18:19]
	v_add_f64 v[22:23], v[38:39], -v[34:35]
	v_add_f64 v[34:35], v[34:35], -v[38:39]
	v_add_f64 v[77:78], v[77:78], v[87:88]
	v_fma_f64 v[87:88], v[42:43], s[4:5], v[8:9]
	v_fma_f64 v[8:9], v[42:43], s[0:1], v[8:9]
	;; [unrolled: 1-line block ×3, first 2 shown]
	v_add_f64 v[61:62], v[61:62], v[75:76]
	s_barrier
	v_add_f64 v[63:64], v[63:64], v[20:21]
	buffer_gl0_inv
	v_mad_i32_i24 v49, 0x50, v50, 0
	v_fma_f64 v[46:47], v[65:66], s[6:7], v[46:47]
	v_fma_f64 v[56:57], v[65:66], s[10:11], v[56:57]
	;; [unrolled: 1-line block ×4, first 2 shown]
	v_lshlrev_b32_e32 v51, 6, v50
	v_fma_f64 v[91:92], v[2:3], s[10:11], v[4:5]
	v_fma_f64 v[4:5], v[14:15], s[4:5], v[69:70]
	;; [unrolled: 1-line block ×9, first 2 shown]
	v_add_f64 v[73:74], v[73:74], v[22:23]
	v_fma_f64 v[75:76], v[14:15], s[6:7], v[87:88]
	v_add_f64 v[87:88], v[30:31], v[34:35]
	s_mov_b32 s14, 0x9b97f4a8
	s_mov_b32 s15, 0x3fe9e377
	v_fma_f64 v[65:66], v[0:1], s[10:11], v[65:66]
	v_fma_f64 v[71:72], v[0:1], s[6:7], v[6:7]
	v_add_f64 v[0:1], v[16:17], v[24:25]
	v_fma_f64 v[16:17], v[42:43], s[6:7], v[83:84]
	v_fma_f64 v[42:43], v[42:43], s[10:11], v[4:5]
	;; [unrolled: 1-line block ×4, first 2 shown]
	v_add_f64 v[4:5], v[32:33], v[36:37]
	v_fma_f64 v[20:21], v[77:78], s[12:13], v[79:80]
	v_fma_f64 v[83:84], v[28:29], s[10:11], v[89:90]
	;; [unrolled: 1-line block ×5, first 2 shown]
	v_add_f64 v[2:3], v[18:19], v[26:27]
	v_and_b32_e32 v19, 0xff, v48
	v_fma_f64 v[8:9], v[67:68], s[12:13], v[46:47]
	v_fma_f64 v[10:11], v[81:82], s[12:13], v[85:86]
	;; [unrolled: 1-line block ×4, first 2 shown]
	v_add_f64 v[6:7], v[44:45], v[38:39]
	v_fma_f64 v[32:33], v[63:64], s[12:13], v[75:76]
	v_lshl_add_u32 v44, v48, 6, v58
	v_fma_f64 v[22:23], v[40:41], s[12:13], v[65:66]
	v_fma_f64 v[26:27], v[40:41], s[12:13], v[71:72]
	v_mov_b32_e32 v18, 9
	v_fma_f64 v[28:29], v[61:62], s[12:13], v[16:17]
	v_mul_lo_u16 v16, 0xcd, v19
	v_fma_f64 v[36:37], v[61:62], s[12:13], v[42:43]
	v_fma_f64 v[38:39], v[73:74], s[12:13], v[69:70]
	ds_write_b128 v44, v[0:3]
	ds_write_b128 v44, v[8:11] offset:16
	v_lshrrev_b16 v16, 10, v16
	v_fma_f64 v[30:31], v[73:74], s[12:13], v[83:84]
	v_fma_f64 v[34:35], v[87:88], s[12:13], v[34:35]
	v_fma_f64 v[40:41], v[63:64], s[12:13], v[89:90]
	v_fma_f64 v[42:43], v[87:88], s[12:13], v[93:94]
	v_mul_lo_u16 v17, v16, 5
	ds_write_b128 v44, v[20:23] offset:32
	ds_write_b128 v44, v[24:27] offset:48
	;; [unrolled: 1-line block ×3, first 2 shown]
	ds_write_b128 v49, v[4:7]
	ds_write_b128 v49, v[28:31] offset:16
	ds_write_b128 v49, v[32:35] offset:32
	;; [unrolled: 1-line block ×3, first 2 shown]
	v_sub_nc_u16 v17, v48, v17
	ds_write_b128 v49, v[36:39] offset:64
	s_waitcnt lgkmcnt(0)
	s_barrier
	buffer_gl0_inv
	v_mul_u32_u24_sdwa v0, v17, v18 dst_sel:DWORD dst_unused:UNUSED_PAD src0_sel:BYTE_0 src1_sel:DWORD
	v_lshl_add_u32 v60, v55, 4, 0
	v_lshl_add_u32 v59, v54, 4, 0
	v_mul_lo_u16 v19, v19, 41
	v_lshlrev_b32_e32 v20, 4, v0
	s_clause 0x8
	global_load_dwordx4 v[0:3], v20, s[8:9] offset:16
	global_load_dwordx4 v[4:7], v20, s[8:9] offset:32
	;; [unrolled: 1-line block ×8, first 2 shown]
	global_load_dwordx4 v[37:40], v20, s[8:9]
	ds_read_b128 v[41:44], v60
	ds_read_b128 v[61:64], v59
	ds_read_b128 v[65:68], v58 offset:9600
	ds_read_b128 v[69:72], v58 offset:14400
	;; [unrolled: 1-line block ×3, first 2 shown]
	ds_read_b128 v[77:80], v58
	ds_read_b128 v[81:84], v58 offset:12000
	v_sub_nc_u32_e32 v20, v49, v51
	v_sub_nc_u32_e32 v51, 0, v51
	s_waitcnt vmcnt(8) lgkmcnt(6)
	v_mul_f64 v[45:46], v[43:44], v[2:3]
	v_mul_f64 v[2:3], v[41:42], v[2:3]
	s_waitcnt vmcnt(7) lgkmcnt(5)
	v_mul_f64 v[56:57], v[63:64], v[6:7]
	v_mul_f64 v[6:7], v[61:62], v[6:7]
	;; [unrolled: 3-line block ×3, first 2 shown]
	v_fma_f64 v[45:46], v[41:42], v[0:1], -v[45:46]
	v_fma_f64 v[87:88], v[43:44], v[0:1], v[2:3]
	s_waitcnt vmcnt(5) lgkmcnt(3)
	v_mul_f64 v[0:1], v[71:72], v[14:15]
	v_mul_f64 v[2:3], v[69:70], v[14:15]
	ds_read_b128 v[41:44], v58 offset:16800
	v_fma_f64 v[56:57], v[61:62], v[4:5], -v[56:57]
	v_fma_f64 v[89:90], v[63:64], v[4:5], v[6:7]
	ds_read_b128 v[61:64], v58 offset:21600
	s_waitcnt vmcnt(4) lgkmcnt(4)
	v_mul_f64 v[4:5], v[75:76], v[23:24]
	v_mul_f64 v[14:15], v[73:74], v[23:24]
	v_fma_f64 v[23:24], v[65:66], v[8:9], -v[85:86]
	v_fma_f64 v[85:86], v[67:68], v[8:9], v[10:11]
	ds_read_b128 v[65:68], v20
	s_waitcnt vmcnt(3) lgkmcnt(3)
	v_mul_f64 v[10:11], v[83:84], v[27:28]
	s_waitcnt vmcnt(0) lgkmcnt(0)
	s_barrier
	buffer_gl0_inv
	v_fma_f64 v[6:7], v[69:70], v[12:13], -v[0:1]
	v_fma_f64 v[8:9], v[71:72], v[12:13], v[2:3]
	v_mul_f64 v[12:13], v[81:82], v[27:28]
	v_mul_f64 v[27:28], v[43:44], v[31:32]
	;; [unrolled: 1-line block ×4, first 2 shown]
	v_fma_f64 v[0:1], v[73:74], v[21:22], -v[4:5]
	v_fma_f64 v[2:3], v[75:76], v[21:22], v[14:15]
	v_mul_f64 v[14:15], v[61:62], v[35:36]
	v_mul_f64 v[21:22], v[67:68], v[39:40]
	;; [unrolled: 1-line block ×3, first 2 shown]
	v_fma_f64 v[39:40], v[81:82], v[25:26], -v[10:11]
	v_add_f64 v[73:74], v[23:24], -v[45:46]
	v_fma_f64 v[25:26], v[83:84], v[25:26], v[12:13]
	v_fma_f64 v[10:11], v[41:42], v[29:30], -v[27:28]
	v_fma_f64 v[4:5], v[61:62], v[33:34], -v[69:70]
	v_fma_f64 v[12:13], v[43:44], v[29:30], v[31:32]
	v_add_f64 v[27:28], v[23:24], v[6:7]
	v_add_f64 v[29:30], v[45:46], v[0:1]
	v_fma_f64 v[14:15], v[63:64], v[33:34], v[14:15]
	v_add_f64 v[31:32], v[85:86], v[8:9]
	v_add_f64 v[33:34], v[87:88], v[2:3]
	v_fma_f64 v[21:22], v[65:66], v[37:38], -v[21:22]
	v_fma_f64 v[35:36], v[67:68], v[37:38], v[35:36]
	v_add_f64 v[65:66], v[56:57], -v[39:40]
	v_add_f64 v[37:38], v[45:46], -v[23:24]
	;; [unrolled: 1-line block ×3, first 2 shown]
	v_add_f64 v[43:44], v[77:78], v[45:46]
	v_add_f64 v[61:62], v[87:88], -v[85:86]
	v_add_f64 v[63:64], v[2:3], -v[8:9]
	;; [unrolled: 1-line block ×8, first 2 shown]
	v_fma_f64 v[27:28], v[27:28], -0.5, v[77:78]
	v_fma_f64 v[29:30], v[29:30], -0.5, v[77:78]
	v_add_f64 v[71:72], v[14:15], -v[12:13]
	v_fma_f64 v[31:32], v[31:32], -0.5, v[79:80]
	v_fma_f64 v[33:34], v[33:34], -0.5, v[79:80]
	v_add_f64 v[77:78], v[79:80], v[87:88]
	v_add_f64 v[79:80], v[56:57], v[4:5]
	;; [unrolled: 1-line block ×3, first 2 shown]
	v_add_f64 v[41:42], v[25:26], -v[89:90]
	v_add_f64 v[43:44], v[43:44], v[23:24]
	v_add_f64 v[61:62], v[61:62], v[63:64]
	v_add_f64 v[63:64], v[12:13], -v[14:15]
	v_add_f64 v[73:74], v[73:74], v[75:76]
	v_add_f64 v[75:76], v[89:90], v[14:15]
	;; [unrolled: 3-line block ×3, first 2 shown]
	v_add_f64 v[81:82], v[81:82], v[83:84]
	v_add_f64 v[83:84], v[25:26], -v[12:13]
	v_add_f64 v[69:70], v[69:70], v[71:72]
	v_add_f64 v[71:72], v[25:26], v[12:13]
	v_add_f64 v[77:78], v[77:78], v[85:86]
	v_fma_f64 v[79:80], v[79:80], -0.5, v[21:22]
	v_add_f64 v[43:44], v[43:44], v[6:7]
	v_lshrrev_b16 v6, 11, v19
	v_add_f64 v[41:42], v[41:42], v[63:64]
	v_add_f64 v[63:64], v[35:36], v[89:90]
	v_add_f64 v[89:90], v[89:90], -v[14:15]
	v_fma_f64 v[67:68], v[67:68], -0.5, v[21:22]
	v_add_f64 v[21:22], v[21:22], v[56:57]
	v_add_f64 v[56:57], v[56:57], -v[4:5]
	v_fma_f64 v[71:72], v[71:72], -0.5, v[35:36]
	v_fma_f64 v[35:36], v[75:76], -0.5, v[35:36]
	v_fma_f64 v[75:76], v[83:84], s[4:5], v[79:80]
	v_fma_f64 v[79:80], v[83:84], s[0:1], v[79:80]
	v_add_f64 v[43:44], v[43:44], v[0:1]
	v_mul_lo_u16 v0, v6, 50
	v_add_f64 v[25:26], v[63:64], v[25:26]
	v_add_f64 v[63:64], v[8:9], -v[2:3]
	v_fma_f64 v[91:92], v[89:90], s[0:1], v[67:68]
	v_add_f64 v[21:22], v[21:22], v[39:40]
	v_add_f64 v[39:40], v[39:40], -v[10:11]
	v_fma_f64 v[67:68], v[89:90], s[4:5], v[67:68]
	v_fma_f64 v[93:94], v[56:57], s[4:5], v[71:72]
	;; [unrolled: 1-line block ×15, first 2 shown]
	v_add_f64 v[71:72], v[87:88], -v[2:3]
	v_add_f64 v[87:88], v[85:86], -v[87:88]
	;; [unrolled: 1-line block ×3, first 2 shown]
	v_add_f64 v[7:8], v[77:78], v[8:9]
	v_add_f64 v[9:10], v[21:22], v[10:11]
	;; [unrolled: 1-line block ×3, first 2 shown]
	v_fma_f64 v[89:90], v[41:42], s[12:13], v[89:90]
	v_fma_f64 v[35:36], v[41:42], s[12:13], v[35:36]
	;; [unrolled: 1-line block ×14, first 2 shown]
	v_add_f64 v[63:64], v[87:88], v[63:64]
	v_add_f64 v[91:92], v[7:8], v[2:3]
	;; [unrolled: 1-line block ×4, first 2 shown]
	v_sub_nc_u16 v5, v48, v0
	v_mov_b32_e32 v15, 0x320
	v_mov_b32_e32 v4, 4
	v_fma_f64 v[25:26], v[23:24], s[10:11], v[41:42]
	v_mul_f64 v[77:78], v[56:57], s[10:11]
	v_mul_u32_u24_sdwa v15, v16, v15 dst_sel:DWORD dst_unused:UNUSED_PAD src0_sel:WORD_0 src1_sel:DWORD
	v_fma_f64 v[21:22], v[85:86], s[6:7], v[81:82]
	v_mul_f64 v[81:82], v[35:36], s[12:13]
	v_fma_f64 v[41:42], v[71:72], s[6:7], v[67:68]
	v_mul_f64 v[87:88], v[39:40], s[14:15]
	;; [unrolled: 2-line block ×3, first 2 shown]
	v_fma_f64 v[29:30], v[71:72], s[10:11], v[29:30]
	v_fma_f64 v[33:34], v[45:46], s[6:7], v[33:34]
	v_mul_f64 v[45:46], v[89:90], s[0:1]
	v_mul_f64 v[71:72], v[75:76], s[4:5]
	v_fma_f64 v[23:24], v[23:24], s[6:7], v[31:32]
	v_mul_f64 v[31:32], v[79:80], s[12:13]
	v_fma_f64 v[27:28], v[85:86], s[10:11], v[27:28]
	v_mul_f64 v[85:86], v[65:66], s[14:15]
	v_add_f64 v[0:1], v[43:44], v[7:8]
	v_add_f64 v[2:3], v[91:92], v[9:10]
	v_add_f64 v[7:8], v[43:44], -v[7:8]
	v_add_f64 v[9:10], v[91:92], -v[9:10]
	v_lshlrev_b32_sdwa v16, v4, v17 dst_sel:DWORD dst_unused:UNUSED_PAD src0_sel:DWORD src1_sel:BYTE_0
	v_fma_f64 v[25:26], v[61:62], s[12:13], v[25:26]
	v_mul_u32_u24_sdwa v17, v5, v18 dst_sel:DWORD dst_unused:UNUSED_PAD src0_sel:BYTE_0 src1_sel:DWORD
	v_lshlrev_b32_sdwa v4, v4, v5 dst_sel:DWORD dst_unused:UNUSED_PAD src0_sel:DWORD src1_sel:BYTE_0
	v_fma_f64 v[21:22], v[37:38], s[12:13], v[21:22]
	v_add3_u32 v15, 0, v15, v16
	v_fma_f64 v[41:42], v[73:74], s[12:13], v[41:42]
	v_fma_f64 v[65:66], v[65:66], s[10:11], -v[87:88]
	v_fma_f64 v[67:68], v[63:64], s[12:13], v[67:68]
	v_fma_f64 v[56:57], v[56:57], s[14:15], v[69:70]
	v_fma_f64 v[69:70], v[83:84], s[14:15], v[77:78]
	v_fma_f64 v[73:74], v[73:74], s[12:13], v[29:30]
	v_fma_f64 v[63:64], v[63:64], s[12:13], v[33:34]
	v_fma_f64 v[29:30], v[75:76], s[12:13], v[45:46]
	v_fma_f64 v[33:34], v[89:90], s[12:13], v[71:72]
	v_fma_f64 v[71:72], v[61:62], s[12:13], v[23:24]
	v_fma_f64 v[61:62], v[35:36], s[0:1], -v[31:32]
	v_fma_f64 v[75:76], v[79:80], s[4:5], -v[81:82]
	v_fma_f64 v[45:46], v[37:38], s[12:13], v[27:28]
	v_fma_f64 v[77:78], v[39:40], s[6:7], -v[85:86]
	v_lshlrev_b32_e32 v19, 4, v17
	v_add_f64 v[11:12], v[21:22], v[56:57]
	v_add_f64 v[13:14], v[25:26], v[69:70]
	v_add_f64 v[23:24], v[25:26], -v[69:70]
	v_add_f64 v[21:22], v[21:22], -v[56:57]
	v_add_f64 v[25:26], v[41:42], v[29:30]
	v_add_f64 v[27:28], v[67:68], v[33:34]
	v_add_f64 v[31:32], v[67:68], -v[33:34]
	v_add_f64 v[33:34], v[73:74], v[61:62]
	v_add_f64 v[35:36], v[63:64], v[75:76]
	;; [unrolled: 1-line block ×4, first 2 shown]
	v_add_f64 v[29:30], v[41:42], -v[29:30]
	v_add_f64 v[41:42], v[73:74], -v[61:62]
	;; [unrolled: 1-line block ×5, first 2 shown]
	ds_write_b128 v15, v[0:3]
	ds_write_b128 v15, v[7:10] offset:400
	ds_write_b128 v15, v[11:14] offset:80
	;; [unrolled: 1-line block ×9, first 2 shown]
	s_waitcnt lgkmcnt(0)
	s_barrier
	buffer_gl0_inv
	s_clause 0x8
	global_load_dwordx4 v[0:3], v19, s[8:9] offset:736
	global_load_dwordx4 v[7:10], v19, s[8:9] offset:752
	;; [unrolled: 1-line block ×9, first 2 shown]
	ds_read_b128 v[41:44], v60
	ds_read_b128 v[61:64], v59
	ds_read_b128 v[65:68], v58 offset:9600
	ds_read_b128 v[69:72], v58 offset:14400
	;; [unrolled: 1-line block ×3, first 2 shown]
	ds_read_b128 v[77:80], v58
	v_mov_b32_e32 v19, 0x1f40
	v_mul_u32_u24_sdwa v6, v6, v19 dst_sel:DWORD dst_unused:UNUSED_PAD src0_sel:WORD_0 src1_sel:DWORD
	v_add3_u32 v4, 0, v6, v4
	s_waitcnt vmcnt(8) lgkmcnt(5)
	v_mul_f64 v[45:46], v[43:44], v[2:3]
	s_waitcnt vmcnt(7) lgkmcnt(4)
	v_mul_f64 v[56:57], v[63:64], v[9:10]
	v_mul_f64 v[9:10], v[61:62], v[9:10]
	;; [unrolled: 1-line block ×3, first 2 shown]
	s_waitcnt vmcnt(6) lgkmcnt(3)
	v_mul_f64 v[81:82], v[67:68], v[13:14]
	v_mul_f64 v[13:14], v[65:66], v[13:14]
	s_waitcnt vmcnt(5) lgkmcnt(2)
	v_mul_f64 v[85:86], v[71:72], v[17:18]
	v_mul_f64 v[17:18], v[69:70], v[17:18]
	v_fma_f64 v[45:46], v[41:42], v[0:1], -v[45:46]
	v_fma_f64 v[56:57], v[61:62], v[7:8], -v[56:57]
	v_fma_f64 v[61:62], v[63:64], v[7:8], v[9:10]
	s_waitcnt vmcnt(4) lgkmcnt(1)
	v_mul_f64 v[63:64], v[75:76], v[23:24]
	v_mul_f64 v[23:24], v[73:74], v[23:24]
	v_fma_f64 v[83:84], v[43:44], v[0:1], v[2:3]
	ds_read_b128 v[0:3], v58 offset:12000
	ds_read_b128 v[7:10], v58 offset:16800
	;; [unrolled: 1-line block ×3, first 2 shown]
	v_fma_f64 v[65:66], v[65:66], v[11:12], -v[81:82]
	v_fma_f64 v[67:68], v[67:68], v[11:12], v[13:14]
	v_fma_f64 v[69:70], v[69:70], v[15:16], -v[85:86]
	v_fma_f64 v[15:16], v[71:72], v[15:16], v[17:18]
	ds_read_b128 v[11:14], v20
	s_waitcnt vmcnt(0) lgkmcnt(0)
	s_barrier
	buffer_gl0_inv
	v_fma_f64 v[63:64], v[73:74], v[21:22], -v[63:64]
	v_mul_f64 v[81:82], v[2:3], v[27:28]
	v_mul_f64 v[17:18], v[0:1], v[27:28]
	;; [unrolled: 1-line block ×5, first 2 shown]
	v_fma_f64 v[21:22], v[75:76], v[21:22], v[23:24]
	v_mul_f64 v[23:24], v[41:42], v[35:36]
	v_mul_f64 v[35:36], v[13:14], v[39:40]
	v_mul_f64 v[39:40], v[11:12], v[39:40]
	v_add_f64 v[85:86], v[69:70], -v[63:64]
	v_fma_f64 v[0:1], v[0:1], v[25:26], -v[81:82]
	v_fma_f64 v[2:3], v[2:3], v[25:26], v[17:18]
	v_fma_f64 v[7:8], v[7:8], v[29:30], -v[27:28]
	v_fma_f64 v[17:18], v[41:42], v[33:34], -v[71:72]
	v_fma_f64 v[9:10], v[9:10], v[29:30], v[31:32]
	v_add_f64 v[25:26], v[65:66], v[69:70]
	v_fma_f64 v[23:24], v[43:44], v[33:34], v[23:24]
	v_add_f64 v[27:28], v[45:46], v[63:64]
	v_add_f64 v[29:30], v[67:68], v[15:16]
	;; [unrolled: 1-line block ×3, first 2 shown]
	v_fma_f64 v[11:12], v[11:12], v[37:38], -v[35:36]
	v_fma_f64 v[13:14], v[13:14], v[37:38], v[39:40]
	v_add_f64 v[33:34], v[45:46], -v[65:66]
	v_add_f64 v[35:36], v[63:64], -v[69:70]
	;; [unrolled: 1-line block ×4, first 2 shown]
	v_add_f64 v[41:42], v[77:78], v[45:46]
	v_add_f64 v[81:82], v[65:66], -v[45:46]
	v_add_f64 v[45:46], v[45:46], -v[63:64]
	;; [unrolled: 1-line block ×7, first 2 shown]
	v_fma_f64 v[25:26], v[25:26], -0.5, v[77:78]
	v_add_f64 v[75:76], v[23:24], -v[9:10]
	v_fma_f64 v[27:28], v[27:28], -0.5, v[77:78]
	v_fma_f64 v[29:30], v[29:30], -0.5, v[79:80]
	;; [unrolled: 1-line block ×3, first 2 shown]
	v_add_f64 v[77:78], v[79:80], v[83:84]
	v_add_f64 v[79:80], v[56:57], v[17:18]
	;; [unrolled: 1-line block ×3, first 2 shown]
	v_add_f64 v[35:36], v[2:3], -v[61:62]
	v_add_f64 v[37:38], v[37:38], v[39:40]
	v_add_f64 v[39:40], v[9:10], -v[23:24]
	v_add_f64 v[81:82], v[81:82], v[85:86]
	v_add_f64 v[85:86], v[0:1], v[7:8]
	v_add_f64 v[41:42], v[41:42], v[65:66]
	v_add_f64 v[65:66], v[65:66], -v[69:70]
	v_add_f64 v[43:44], v[43:44], v[71:72]
	v_add_f64 v[71:72], v[2:3], v[9:10]
	;; [unrolled: 1-line block ×5, first 2 shown]
	v_add_f64 v[89:90], v[2:3], -v[9:10]
	v_add_f64 v[77:78], v[77:78], v[67:68]
	v_fma_f64 v[79:80], v[79:80], -0.5, v[11:12]
	v_add_f64 v[35:36], v[35:36], v[39:40]
	v_add_f64 v[39:40], v[13:14], v[61:62]
	v_add_f64 v[61:62], v[61:62], -v[23:24]
	v_fma_f64 v[85:86], v[85:86], -0.5, v[11:12]
	v_add_f64 v[11:12], v[11:12], v[56:57]
	v_add_f64 v[56:57], v[56:57], -v[17:18]
	v_add_f64 v[41:42], v[41:42], v[69:70]
	v_fma_f64 v[71:72], v[71:72], -0.5, v[13:14]
	v_fma_f64 v[13:14], v[75:76], -0.5, v[13:14]
	v_fma_f64 v[75:76], v[89:90], s[4:5], v[79:80]
	v_fma_f64 v[79:80], v[89:90], s[0:1], v[79:80]
	v_add_f64 v[2:3], v[39:40], v[2:3]
	v_fma_f64 v[39:40], v[61:62], s[0:1], v[85:86]
	v_fma_f64 v[85:86], v[61:62], s[4:5], v[85:86]
	v_add_f64 v[41:42], v[41:42], v[63:64]
	v_fma_f64 v[93:94], v[56:57], s[4:5], v[71:72]
	v_fma_f64 v[71:72], v[56:57], s[0:1], v[71:72]
	;; [unrolled: 1-line block ×4, first 2 shown]
	v_add_f64 v[79:80], v[0:1], -v[7:8]
	v_add_f64 v[0:1], v[11:12], v[0:1]
	v_add_f64 v[11:12], v[15:16], -v[21:22]
	v_add_f64 v[2:3], v[2:3], v[9:10]
	v_fma_f64 v[39:40], v[89:90], s[6:7], v[39:40]
	v_fma_f64 v[75:76], v[87:88], s[12:13], v[75:76]
	;; [unrolled: 1-line block ×6, first 2 shown]
	v_add_f64 v[0:1], v[0:1], v[7:8]
	v_add_f64 v[2:3], v[2:3], v[23:24]
	v_fma_f64 v[39:40], v[43:44], s[12:13], v[39:40]
	v_fma_f64 v[91:92], v[56:57], s[10:11], v[91:92]
	;; [unrolled: 1-line block ×5, first 2 shown]
	v_add_f64 v[79:80], v[83:84], -v[21:22]
	v_add_f64 v[83:84], v[67:68], -v[83:84]
	;; [unrolled: 1-line block ×3, first 2 shown]
	v_fma_f64 v[71:72], v[73:74], s[12:13], v[71:72]
	v_add_f64 v[15:16], v[77:78], v[15:16]
	v_mul_f64 v[77:78], v[75:76], s[4:5]
	v_add_f64 v[0:1], v[0:1], v[17:18]
	v_fma_f64 v[89:90], v[35:36], s[12:13], v[91:92]
	v_fma_f64 v[13:14], v[35:36], s[12:13], v[13:14]
	v_fma_f64 v[35:36], v[45:46], s[4:5], v[29:30]
	v_fma_f64 v[43:44], v[43:44], s[12:13], v[56:57]
	v_fma_f64 v[87:88], v[79:80], s[0:1], v[25:26]
	v_fma_f64 v[85:86], v[73:74], s[12:13], v[85:86]
	v_fma_f64 v[56:57], v[67:68], s[4:5], v[27:28]
	v_fma_f64 v[73:74], v[65:66], s[0:1], v[31:32]
	v_fma_f64 v[31:32], v[65:66], s[4:5], v[31:32]
	v_fma_f64 v[27:28], v[67:68], s[0:1], v[27:28]
	v_fma_f64 v[25:26], v[79:80], s[4:5], v[25:26]
	v_fma_f64 v[29:30], v[45:46], s[0:1], v[29:30]
	v_add_f64 v[11:12], v[83:84], v[11:12]
	v_mul_f64 v[83:84], v[71:72], s[14:15]
	v_add_f64 v[15:16], v[15:16], v[21:22]
	v_fma_f64 v[9:10], v[65:66], s[10:11], v[35:36]
	v_fma_f64 v[7:8], v[67:68], s[6:7], v[87:88]
	v_mul_f64 v[69:70], v[85:86], s[6:7]
	v_fma_f64 v[35:36], v[79:80], s[6:7], v[56:57]
	v_fma_f64 v[56:57], v[45:46], s[10:11], v[73:74]
	v_mul_f64 v[73:74], v[39:40], s[10:11]
	v_fma_f64 v[31:32], v[45:46], s[6:7], v[31:32]
	v_mul_f64 v[45:46], v[89:90], s[0:1]
	v_fma_f64 v[27:28], v[79:80], s[10:11], v[27:28]
	v_fma_f64 v[25:26], v[67:68], s[10:11], v[25:26]
	;; [unrolled: 1-line block ×3, first 2 shown]
	v_mul_f64 v[65:66], v[61:62], s[12:13]
	v_mul_f64 v[67:68], v[13:14], s[12:13]
	;; [unrolled: 1-line block ×3, first 2 shown]
	v_fma_f64 v[23:24], v[37:38], s[12:13], v[9:10]
	v_add_f64 v[9:10], v[15:16], v[2:3]
	v_fma_f64 v[21:22], v[33:34], s[12:13], v[7:8]
	v_fma_f64 v[39:40], v[39:40], s[14:15], v[69:70]
	;; [unrolled: 1-line block ×10, first 2 shown]
	v_fma_f64 v[65:66], v[13:14], s[0:1], -v[65:66]
	v_fma_f64 v[61:62], v[61:62], s[4:5], -v[67:68]
	v_fma_f64 v[77:78], v[37:38], s[12:13], v[29:30]
	v_fma_f64 v[67:68], v[71:72], s[6:7], -v[79:80]
	v_fma_f64 v[71:72], v[43:44], s[10:11], -v[83:84]
	v_add_f64 v[7:8], v[41:42], v[0:1]
	v_add_f64 v[11:12], v[41:42], -v[0:1]
	v_add_f64 v[13:14], v[15:16], -v[2:3]
	v_cmp_gt_u32_e64 s0, 50, v48
	v_add_f64 v[15:16], v[21:22], v[39:40]
	v_add_f64 v[21:22], v[21:22], -v[39:40]
	v_add_f64 v[17:18], v[23:24], v[63:64]
	v_add_f64 v[23:24], v[23:24], -v[63:64]
	v_add_f64 v[25:26], v[35:36], v[31:32]
	v_add_f64 v[27:28], v[56:57], v[45:46]
	v_add_f64 v[29:30], v[35:36], -v[31:32]
	v_add_f64 v[31:32], v[56:57], -v[45:46]
	v_add_f64 v[33:34], v[69:70], v[65:66]
	v_add_f64 v[35:36], v[73:74], v[61:62]
	v_add_f64 v[41:42], v[69:70], -v[65:66]
	v_add_f64 v[37:38], v[75:76], v[67:68]
	v_add_f64 v[39:40], v[77:78], v[71:72]
	v_add_f64 v[43:44], v[73:74], -v[61:62]
	v_add_f64 v[0:1], v[75:76], -v[67:68]
	;; [unrolled: 1-line block ×3, first 2 shown]
	ds_write_b128 v4, v[7:10]
	ds_write_b128 v4, v[11:14] offset:4000
	ds_write_b128 v4, v[15:18] offset:800
	;; [unrolled: 1-line block ×9, first 2 shown]
	s_waitcnt lgkmcnt(0)
	s_barrier
	buffer_gl0_inv
	ds_read_b128 v[16:19], v58
	ds_read_b128 v[44:47], v58 offset:8000
	ds_read_b128 v[28:31], v58 offset:16000
	ds_read_b128 v[24:27], v58 offset:18400
	ds_read_b128 v[20:23], v20
	ds_read_b128 v[12:15], v60
	ds_read_b128 v[40:43], v58 offset:10400
	ds_read_b128 v[32:35], v58 offset:12800
	;; [unrolled: 1-line block ×3, first 2 shown]
                                        ; implicit-def: $vgpr10_vgpr11
                                        ; implicit-def: $vgpr6_vgpr7
	s_and_saveexec_b32 s1, s0
	s_cbranch_execz .LBB0_15
; %bb.14:
	ds_read_b128 v[0:3], v59
	ds_read_b128 v[4:7], v58 offset:15200
	ds_read_b128 v[8:11], v58 offset:23200
.LBB0_15:
	s_or_b32 exec_lo, exec_lo, s1
	v_lshlrev_b32_e32 v56, 1, v48
	v_mov_b32_e32 v57, 0
	s_mov_b32 s4, 0xe8584caa
	s_mov_b32 s5, 0x3febb67a
	;; [unrolled: 1-line block ×4, first 2 shown]
	v_lshlrev_b64 v[61:62], 4, v[56:57]
	v_lshlrev_b32_e32 v56, 1, v50
	v_lshlrev_b64 v[63:64], 4, v[56:57]
	v_add_co_u32 v65, s1, s8, v61
	v_add_co_ci_u32_e64 v66, s1, s9, v62, s1
	v_lshlrev_b32_e32 v56, 1, v55
	v_add_co_u32 v61, s1, 0x1800, v65
	v_add_co_ci_u32_e64 v62, s1, 0, v66, s1
	v_add_co_u32 v65, s1, 0x1ef0, v65
	v_add_co_ci_u32_e64 v66, s1, 0, v66, s1
	;; [unrolled: 2-line block ×3, first 2 shown]
	s_clause 0x1
	global_load_dwordx4 v[61:64], v[61:62], off offset:1776
	global_load_dwordx4 v[65:68], v[65:66], off offset:16
	v_lshlrev_b64 v[69:70], 4, v[56:57]
	v_add_co_u32 v73, s1, 0x1ef0, v71
	v_add_co_ci_u32_e64 v74, s1, 0, v72, s1
	v_add_co_u32 v56, s1, s8, v69
	v_add_co_ci_u32_e64 v75, s1, s9, v70, s1
	v_add_co_u32 v69, s1, 0x1800, v71
	v_add_co_ci_u32_e64 v70, s1, 0, v72, s1
	v_add_co_u32 v77, s1, 0x1800, v56
	v_add_co_ci_u32_e64 v78, s1, 0, v75, s1
	v_add_co_u32 v81, s1, 0x1ef0, v56
	v_add_co_ci_u32_e64 v82, s1, 0, v75, s1
	s_clause 0x3
	global_load_dwordx4 v[69:72], v[69:70], off offset:1776
	global_load_dwordx4 v[73:76], v[73:74], off offset:16
	;; [unrolled: 1-line block ×4, first 2 shown]
	s_waitcnt vmcnt(0) lgkmcnt(0)
	s_barrier
	buffer_gl0_inv
	v_mul_f64 v[85:86], v[46:47], v[63:64]
	v_mul_f64 v[63:64], v[44:45], v[63:64]
	;; [unrolled: 1-line block ×10, first 2 shown]
	v_fma_f64 v[44:45], v[44:45], v[61:62], -v[85:86]
	v_fma_f64 v[46:47], v[46:47], v[61:62], v[63:64]
	v_mul_f64 v[61:62], v[32:33], v[79:80]
	v_mul_f64 v[63:64], v[36:37], v[83:84]
	v_fma_f64 v[28:29], v[28:29], v[65:66], -v[87:88]
	v_fma_f64 v[30:31], v[30:31], v[65:66], v[67:68]
	v_fma_f64 v[40:41], v[40:41], v[69:70], -v[89:90]
	v_fma_f64 v[24:25], v[24:25], v[73:74], -v[91:92]
	v_fma_f64 v[42:43], v[42:43], v[69:70], v[71:72]
	v_fma_f64 v[26:27], v[26:27], v[73:74], v[75:76]
	v_fma_f64 v[32:33], v[32:33], v[77:78], -v[93:94]
	v_fma_f64 v[36:37], v[36:37], v[81:82], -v[95:96]
	v_add_f64 v[73:74], v[16:17], v[44:45]
	v_fma_f64 v[34:35], v[34:35], v[77:78], v[61:62]
	v_fma_f64 v[38:39], v[38:39], v[81:82], v[63:64]
	v_add_f64 v[61:62], v[44:45], v[28:29]
	v_add_f64 v[63:64], v[46:47], v[30:31]
	v_add_f64 v[75:76], v[46:47], -v[30:31]
	v_add_f64 v[46:47], v[18:19], v[46:47]
	v_add_f64 v[44:45], v[44:45], -v[28:29]
	v_add_f64 v[77:78], v[20:21], v[40:41]
	v_add_f64 v[65:66], v[40:41], v[24:25]
	;; [unrolled: 1-line block ×6, first 2 shown]
	v_add_f64 v[42:43], v[42:43], -v[26:27]
	v_add_f64 v[40:41], v[40:41], -v[24:25]
	v_add_f64 v[83:84], v[14:15], v[34:35]
	v_add_f64 v[71:72], v[34:35], v[38:39]
	v_fma_f64 v[61:62], v[61:62], -0.5, v[16:17]
	v_fma_f64 v[63:64], v[63:64], -0.5, v[18:19]
	v_add_f64 v[85:86], v[34:35], -v[38:39]
	v_add_f64 v[87:88], v[32:33], -v[36:37]
	v_add_f64 v[17:18], v[77:78], v[24:25]
	v_fma_f64 v[65:66], v[65:66], -0.5, v[20:21]
	v_add_f64 v[19:20], v[79:80], v[26:27]
	v_fma_f64 v[67:68], v[67:68], -0.5, v[22:23]
	;; [unrolled: 2-line block ×3, first 2 shown]
	v_add_nc_u32_e32 v12, v49, v51
	v_add_f64 v[23:24], v[83:84], v[38:39]
	v_fma_f64 v[71:72], v[71:72], -0.5, v[14:15]
	v_add_f64 v[13:14], v[73:74], v[28:29]
	v_add_f64 v[15:16], v[46:47], v[30:31]
	v_fma_f64 v[25:26], v[75:76], s[4:5], v[61:62]
	v_fma_f64 v[27:28], v[44:45], s[6:7], v[63:64]
	;; [unrolled: 1-line block ×12, first 2 shown]
	ds_write_b128 v58, v[13:16]
	ds_write_b128 v58, v[25:28] offset:8000
	ds_write_b128 v58, v[29:32] offset:16000
	ds_write_b128 v12, v[17:20]
	ds_write_b128 v12, v[33:36] offset:8000
	ds_write_b128 v12, v[37:40] offset:16000
	;; [unrolled: 3-line block ×3, first 2 shown]
	s_and_saveexec_b32 s1, s0
	s_cbranch_execz .LBB0_17
; %bb.16:
	v_subrev_nc_u32_e32 v13, 50, v48
	v_cndmask_b32_e64 v13, v13, v54, s0
	v_lshlrev_b32_e32 v56, 1, v13
	v_lshlrev_b64 v[13:14], 4, v[56:57]
	v_add_co_u32 v15, s0, s8, v13
	v_add_co_ci_u32_e64 v16, s0, s9, v14, s0
	v_add_co_u32 v13, s0, 0x1800, v15
	v_add_co_ci_u32_e64 v14, s0, 0, v16, s0
	v_add_co_u32 v17, s0, 0x1ef0, v15
	v_add_co_ci_u32_e64 v18, s0, 0, v16, s0
	s_clause 0x1
	global_load_dwordx4 v[13:16], v[13:14], off offset:1776
	global_load_dwordx4 v[17:20], v[17:18], off offset:16
	s_waitcnt vmcnt(1)
	v_mul_f64 v[21:22], v[4:5], v[15:16]
	s_waitcnt vmcnt(0)
	v_mul_f64 v[23:24], v[8:9], v[19:20]
	v_mul_f64 v[15:16], v[6:7], v[15:16]
	v_mul_f64 v[19:20], v[10:11], v[19:20]
	v_fma_f64 v[6:7], v[6:7], v[13:14], v[21:22]
	v_fma_f64 v[10:11], v[10:11], v[17:18], v[23:24]
	v_fma_f64 v[4:5], v[4:5], v[13:14], -v[15:16]
	v_fma_f64 v[8:9], v[8:9], v[17:18], -v[19:20]
	v_add_f64 v[19:20], v[2:3], v[6:7]
	v_add_f64 v[13:14], v[6:7], v[10:11]
	v_add_f64 v[21:22], v[6:7], -v[10:11]
	v_add_f64 v[15:16], v[4:5], v[8:9]
	v_add_f64 v[17:18], v[4:5], -v[8:9]
	v_add_f64 v[4:5], v[0:1], v[4:5]
	v_fma_f64 v[13:14], v[13:14], -0.5, v[2:3]
	v_add_f64 v[2:3], v[19:20], v[10:11]
	v_fma_f64 v[15:16], v[15:16], -0.5, v[0:1]
	v_add_f64 v[0:1], v[4:5], v[8:9]
	v_fma_f64 v[10:11], v[17:18], s[6:7], v[13:14]
	v_fma_f64 v[6:7], v[17:18], s[4:5], v[13:14]
	;; [unrolled: 1-line block ×4, first 2 shown]
	ds_write_b128 v58, v[0:3] offset:7200
	ds_write_b128 v58, v[8:11] offset:15200
	;; [unrolled: 1-line block ×3, first 2 shown]
.LBB0_17:
	s_or_b32 exec_lo, exec_lo, s1
	s_waitcnt lgkmcnt(0)
	s_barrier
	buffer_gl0_inv
	ds_read_b128 v[4:7], v58
	v_lshlrev_b32_e32 v0, 4, v48
	s_add_u32 s1, s8, 0x5d70
	s_addc_u32 s4, s9, 0
	s_mov_b32 s5, exec_lo
                                        ; implicit-def: $vgpr8_vgpr9
                                        ; implicit-def: $vgpr10_vgpr11
	v_sub_nc_u32_e32 v13, 0, v0
                                        ; implicit-def: $vgpr0_vgpr1
	v_cmpx_ne_u32_e32 0, v48
	s_xor_b32 s5, exec_lo, s5
	s_cbranch_execz .LBB0_19
; %bb.18:
	v_mov_b32_e32 v49, 0
	v_lshlrev_b64 v[0:1], 4, v[48:49]
	v_add_co_u32 v0, s0, s1, v0
	v_add_co_ci_u32_e64 v1, s0, s4, v1, s0
	global_load_dwordx4 v[14:17], v[0:1], off
	ds_read_b128 v[0:3], v13 offset:24000
	s_waitcnt lgkmcnt(0)
	v_add_f64 v[8:9], v[4:5], -v[0:1]
	v_add_f64 v[10:11], v[6:7], v[2:3]
	v_add_f64 v[2:3], v[6:7], -v[2:3]
	v_add_f64 v[0:1], v[4:5], v[0:1]
	v_mul_f64 v[6:7], v[8:9], 0.5
	v_mul_f64 v[4:5], v[10:11], 0.5
	;; [unrolled: 1-line block ×3, first 2 shown]
	s_waitcnt vmcnt(0)
	v_mul_f64 v[8:9], v[6:7], v[16:17]
	v_fma_f64 v[10:11], v[4:5], v[16:17], v[2:3]
	v_fma_f64 v[2:3], v[4:5], v[16:17], -v[2:3]
	v_fma_f64 v[18:19], v[0:1], 0.5, v[8:9]
	v_fma_f64 v[0:1], v[0:1], 0.5, -v[8:9]
	v_fma_f64 v[10:11], -v[14:15], v[6:7], v[10:11]
	v_fma_f64 v[2:3], -v[14:15], v[6:7], v[2:3]
	v_fma_f64 v[8:9], v[4:5], v[14:15], v[18:19]
	v_fma_f64 v[0:1], -v[4:5], v[14:15], v[0:1]
                                        ; implicit-def: $vgpr4_vgpr5
.LBB0_19:
	s_andn2_saveexec_b32 s0, s5
	s_cbranch_execz .LBB0_21
; %bb.20:
	v_mov_b32_e32 v16, 0
	s_waitcnt lgkmcnt(0)
	v_add_f64 v[8:9], v[4:5], v[6:7]
	v_add_f64 v[0:1], v[4:5], -v[6:7]
	v_mov_b32_e32 v10, 0
	v_mov_b32_e32 v11, 0
	ds_read_b64 v[14:15], v16 offset:12008
	v_mov_b32_e32 v2, v10
	v_mov_b32_e32 v3, v11
	s_waitcnt lgkmcnt(0)
	v_xor_b32_e32 v15, 0x80000000, v15
	ds_write_b64 v16, v[14:15] offset:12008
.LBB0_21:
	s_or_b32 exec_lo, exec_lo, s0
	v_mov_b32_e32 v51, 0
	ds_write2_b64 v58, v[8:9], v[10:11] offset1:1
	ds_write_b128 v13, v[0:3] offset:24000
	s_waitcnt lgkmcnt(2)
	v_lshlrev_b64 v[4:5], 4, v[50:51]
	v_mov_b32_e32 v56, v51
	v_add_nc_u32_e32 v50, 0x258, v48
	v_lshlrev_b64 v[14:15], 4, v[55:56]
	v_add_co_u32 v4, s0, s1, v4
	v_add_co_ci_u32_e64 v5, s0, s4, v5, s0
	v_mov_b32_e32 v55, v51
	v_add_co_u32 v14, s0, s1, v14
	global_load_dwordx4 v[4:7], v[4:5], off
	v_add_co_ci_u32_e64 v15, s0, s4, v15, s0
	v_lshlrev_b64 v[18:19], 4, v[54:55]
	global_load_dwordx4 v[14:17], v[14:15], off
	ds_read_b128 v[0:3], v12
	ds_read_b128 v[8:11], v13 offset:21600
	v_add_co_u32 v18, s0, s1, v18
	v_add_co_ci_u32_e64 v19, s0, s4, v19, s0
	global_load_dwordx4 v[18:21], v[18:19], off
	s_waitcnt lgkmcnt(0)
	v_add_f64 v[22:23], v[0:1], -v[8:9]
	v_add_f64 v[24:25], v[2:3], v[10:11]
	v_add_f64 v[2:3], v[2:3], -v[10:11]
	v_add_f64 v[0:1], v[0:1], v[8:9]
	v_mul_f64 v[10:11], v[22:23], 0.5
	v_mul_f64 v[22:23], v[24:25], 0.5
	;; [unrolled: 1-line block ×3, first 2 shown]
	s_waitcnt vmcnt(2)
	v_mul_f64 v[8:9], v[10:11], v[6:7]
	v_fma_f64 v[24:25], v[22:23], v[6:7], v[2:3]
	v_fma_f64 v[2:3], v[22:23], v[6:7], -v[2:3]
	v_fma_f64 v[6:7], v[0:1], 0.5, v[8:9]
	v_fma_f64 v[0:1], v[0:1], 0.5, -v[8:9]
	v_fma_f64 v[8:9], -v[4:5], v[10:11], v[24:25]
	v_fma_f64 v[2:3], -v[4:5], v[10:11], v[2:3]
	v_lshlrev_b64 v[10:11], 4, v[50:51]
	v_fma_f64 v[6:7], v[22:23], v[4:5], v[6:7]
	v_fma_f64 v[0:1], -v[22:23], v[4:5], v[0:1]
	ds_write_b64 v12, v[8:9] offset:8
	ds_write_b64 v13, v[2:3] offset:21608
	ds_write_b64 v12, v[6:7]
	ds_write_b64 v13, v[0:1] offset:21600
	v_add_co_u32 v8, s0, s1, v10
	ds_read_b128 v[0:3], v60
	ds_read_b128 v[4:7], v13 offset:19200
	v_add_co_ci_u32_e64 v9, s0, s4, v11, s0
	global_load_dwordx4 v[8:11], v[8:9], off
	s_waitcnt lgkmcnt(0)
	v_add_f64 v[22:23], v[0:1], -v[4:5]
	v_add_f64 v[24:25], v[2:3], v[6:7]
	v_add_f64 v[2:3], v[2:3], -v[6:7]
	v_add_f64 v[0:1], v[0:1], v[4:5]
	v_mul_f64 v[6:7], v[22:23], 0.5
	v_mul_f64 v[22:23], v[24:25], 0.5
	;; [unrolled: 1-line block ×3, first 2 shown]
	s_waitcnt vmcnt(2)
	v_mul_f64 v[4:5], v[6:7], v[16:17]
	v_fma_f64 v[24:25], v[22:23], v[16:17], v[2:3]
	v_fma_f64 v[2:3], v[22:23], v[16:17], -v[2:3]
	v_fma_f64 v[16:17], v[0:1], 0.5, v[4:5]
	v_fma_f64 v[0:1], v[0:1], 0.5, -v[4:5]
	v_fma_f64 v[4:5], -v[14:15], v[6:7], v[24:25]
	v_fma_f64 v[2:3], -v[14:15], v[6:7], v[2:3]
	v_fma_f64 v[6:7], v[22:23], v[14:15], v[16:17]
	v_fma_f64 v[0:1], -v[22:23], v[14:15], v[0:1]
	ds_write2_b64 v60, v[6:7], v[4:5] offset1:1
	ds_write_b128 v13, v[0:3] offset:19200
	ds_read_b128 v[0:3], v59
	ds_read_b128 v[4:7], v13 offset:16800
	s_waitcnt lgkmcnt(0)
	v_add_f64 v[14:15], v[0:1], -v[4:5]
	v_add_f64 v[16:17], v[2:3], v[6:7]
	v_add_f64 v[2:3], v[2:3], -v[6:7]
	v_add_f64 v[0:1], v[0:1], v[4:5]
	v_mul_f64 v[6:7], v[14:15], 0.5
	v_mul_f64 v[14:15], v[16:17], 0.5
	;; [unrolled: 1-line block ×3, first 2 shown]
	s_waitcnt vmcnt(1)
	v_mul_f64 v[4:5], v[6:7], v[20:21]
	v_fma_f64 v[16:17], v[14:15], v[20:21], v[2:3]
	v_fma_f64 v[2:3], v[14:15], v[20:21], -v[2:3]
	v_fma_f64 v[20:21], v[0:1], 0.5, v[4:5]
	v_fma_f64 v[0:1], v[0:1], 0.5, -v[4:5]
	v_fma_f64 v[4:5], -v[18:19], v[6:7], v[16:17]
	v_fma_f64 v[2:3], -v[18:19], v[6:7], v[2:3]
	v_fma_f64 v[6:7], v[14:15], v[18:19], v[20:21]
	v_fma_f64 v[0:1], -v[14:15], v[18:19], v[0:1]
	ds_write2_b64 v59, v[6:7], v[4:5] offset1:1
	ds_write_b128 v13, v[0:3] offset:16800
	ds_read_b128 v[0:3], v58 offset:9600
	ds_read_b128 v[4:7], v13 offset:14400
	s_waitcnt lgkmcnt(0)
	v_add_f64 v[14:15], v[0:1], -v[4:5]
	v_add_f64 v[16:17], v[2:3], v[6:7]
	v_add_f64 v[2:3], v[2:3], -v[6:7]
	v_add_f64 v[0:1], v[0:1], v[4:5]
	v_mul_f64 v[6:7], v[14:15], 0.5
	v_mul_f64 v[14:15], v[16:17], 0.5
	;; [unrolled: 1-line block ×3, first 2 shown]
	s_waitcnt vmcnt(0)
	v_mul_f64 v[4:5], v[6:7], v[10:11]
	v_fma_f64 v[16:17], v[14:15], v[10:11], v[2:3]
	v_fma_f64 v[2:3], v[14:15], v[10:11], -v[2:3]
	v_fma_f64 v[10:11], v[0:1], 0.5, v[4:5]
	v_fma_f64 v[0:1], v[0:1], 0.5, -v[4:5]
	v_fma_f64 v[4:5], -v[8:9], v[6:7], v[16:17]
	v_fma_f64 v[2:3], -v[8:9], v[6:7], v[2:3]
	v_fma_f64 v[6:7], v[14:15], v[8:9], v[10:11]
	v_fma_f64 v[0:1], -v[14:15], v[8:9], v[0:1]
	v_add_nc_u32_e32 v8, 0x2000, v58
	ds_write2_b64 v8, v[6:7], v[4:5] offset0:176 offset1:177
	ds_write_b128 v13, v[0:3] offset:14400
	s_waitcnt lgkmcnt(0)
	s_barrier
	buffer_gl0_inv
	s_and_saveexec_b32 s0, vcc_lo
	s_cbranch_execz .LBB0_24
; %bb.22:
	v_mov_b32_e32 v49, v51
	ds_read_b128 v[2:5], v58
	v_add_co_u32 v0, vcc_lo, s2, v52
	v_add_co_ci_u32_e32 v1, vcc_lo, s3, v53, vcc_lo
	v_lshlrev_b64 v[18:19], 4, v[48:49]
	ds_read_b128 v[6:9], v58 offset:2400
	ds_read_b128 v[10:13], v58 offset:4800
	;; [unrolled: 1-line block ×3, first 2 shown]
	v_add_co_u32 v26, vcc_lo, v0, v18
	v_add_co_ci_u32_e32 v27, vcc_lo, v1, v19, vcc_lo
	ds_read_b128 v[18:21], v58 offset:9600
	ds_read_b128 v[22:25], v58 offset:12000
	v_add_co_u32 v28, vcc_lo, 0x800, v26
	v_add_co_ci_u32_e32 v29, vcc_lo, 0, v27, vcc_lo
	s_waitcnt lgkmcnt(5)
	global_store_dwordx4 v[26:27], v[2:5], off
	v_add_co_u32 v2, vcc_lo, 0x1000, v26
	v_add_co_ci_u32_e32 v3, vcc_lo, 0, v27, vcc_lo
	v_add_co_u32 v4, vcc_lo, 0x1800, v26
	v_add_co_ci_u32_e32 v5, vcc_lo, 0, v27, vcc_lo
	;; [unrolled: 2-line block ×4, first 2 shown]
	s_waitcnt lgkmcnt(4)
	global_store_dwordx4 v[28:29], v[6:9], off offset:352
	s_waitcnt lgkmcnt(3)
	global_store_dwordx4 v[2:3], v[10:13], off offset:704
	;; [unrolled: 2-line block ×5, first 2 shown]
	ds_read_b128 v[2:5], v58 offset:14400
	ds_read_b128 v[6:9], v58 offset:16800
	;; [unrolled: 1-line block ×4, first 2 shown]
	v_add_co_u32 v18, vcc_lo, 0x3800, v26
	v_add_co_ci_u32_e32 v19, vcc_lo, 0, v27, vcc_lo
	v_add_co_u32 v20, vcc_lo, 0x4000, v26
	v_add_co_ci_u32_e32 v21, vcc_lo, 0, v27, vcc_lo
	;; [unrolled: 2-line block ×4, first 2 shown]
	v_cmp_eq_u32_e32 vcc_lo, 0x95, v48
	s_waitcnt lgkmcnt(3)
	global_store_dwordx4 v[18:19], v[2:5], off offset:64
	s_waitcnt lgkmcnt(2)
	global_store_dwordx4 v[20:21], v[6:9], off offset:416
	;; [unrolled: 2-line block ×4, first 2 shown]
	s_and_b32 exec_lo, exec_lo, vcc_lo
	s_cbranch_execz .LBB0_24
; %bb.23:
	v_mov_b32_e32 v2, 0
	v_add_co_u32 v0, vcc_lo, 0x5800, v0
	v_add_co_ci_u32_e32 v1, vcc_lo, 0, v1, vcc_lo
	ds_read_b128 v[2:5], v2 offset:24000
	s_waitcnt lgkmcnt(0)
	global_store_dwordx4 v[0:1], v[2:5], off offset:1472
.LBB0_24:
	s_endpgm
	.section	.rodata,"a",@progbits
	.p2align	6, 0x0
	.amdhsa_kernel fft_rtc_fwd_len1500_factors_5_10_10_3_wgs_150_tpt_150_halfLds_dp_ip_CI_unitstride_sbrr_R2C_dirReg
		.amdhsa_group_segment_fixed_size 0
		.amdhsa_private_segment_fixed_size 0
		.amdhsa_kernarg_size 88
		.amdhsa_user_sgpr_count 6
		.amdhsa_user_sgpr_private_segment_buffer 1
		.amdhsa_user_sgpr_dispatch_ptr 0
		.amdhsa_user_sgpr_queue_ptr 0
		.amdhsa_user_sgpr_kernarg_segment_ptr 1
		.amdhsa_user_sgpr_dispatch_id 0
		.amdhsa_user_sgpr_flat_scratch_init 0
		.amdhsa_user_sgpr_private_segment_size 0
		.amdhsa_wavefront_size32 1
		.amdhsa_uses_dynamic_stack 0
		.amdhsa_system_sgpr_private_segment_wavefront_offset 0
		.amdhsa_system_sgpr_workgroup_id_x 1
		.amdhsa_system_sgpr_workgroup_id_y 0
		.amdhsa_system_sgpr_workgroup_id_z 0
		.amdhsa_system_sgpr_workgroup_info 0
		.amdhsa_system_vgpr_workitem_id 0
		.amdhsa_next_free_vgpr 97
		.amdhsa_next_free_sgpr 21
		.amdhsa_reserve_vcc 1
		.amdhsa_reserve_flat_scratch 0
		.amdhsa_float_round_mode_32 0
		.amdhsa_float_round_mode_16_64 0
		.amdhsa_float_denorm_mode_32 3
		.amdhsa_float_denorm_mode_16_64 3
		.amdhsa_dx10_clamp 1
		.amdhsa_ieee_mode 1
		.amdhsa_fp16_overflow 0
		.amdhsa_workgroup_processor_mode 1
		.amdhsa_memory_ordered 1
		.amdhsa_forward_progress 0
		.amdhsa_shared_vgpr_count 0
		.amdhsa_exception_fp_ieee_invalid_op 0
		.amdhsa_exception_fp_denorm_src 0
		.amdhsa_exception_fp_ieee_div_zero 0
		.amdhsa_exception_fp_ieee_overflow 0
		.amdhsa_exception_fp_ieee_underflow 0
		.amdhsa_exception_fp_ieee_inexact 0
		.amdhsa_exception_int_div_zero 0
	.end_amdhsa_kernel
	.text
.Lfunc_end0:
	.size	fft_rtc_fwd_len1500_factors_5_10_10_3_wgs_150_tpt_150_halfLds_dp_ip_CI_unitstride_sbrr_R2C_dirReg, .Lfunc_end0-fft_rtc_fwd_len1500_factors_5_10_10_3_wgs_150_tpt_150_halfLds_dp_ip_CI_unitstride_sbrr_R2C_dirReg
                                        ; -- End function
	.section	.AMDGPU.csdata,"",@progbits
; Kernel info:
; codeLenInByte = 9588
; NumSgprs: 23
; NumVgprs: 97
; ScratchSize: 0
; MemoryBound: 0
; FloatMode: 240
; IeeeMode: 1
; LDSByteSize: 0 bytes/workgroup (compile time only)
; SGPRBlocks: 2
; VGPRBlocks: 12
; NumSGPRsForWavesPerEU: 23
; NumVGPRsForWavesPerEU: 97
; Occupancy: 9
; WaveLimiterHint : 1
; COMPUTE_PGM_RSRC2:SCRATCH_EN: 0
; COMPUTE_PGM_RSRC2:USER_SGPR: 6
; COMPUTE_PGM_RSRC2:TRAP_HANDLER: 0
; COMPUTE_PGM_RSRC2:TGID_X_EN: 1
; COMPUTE_PGM_RSRC2:TGID_Y_EN: 0
; COMPUTE_PGM_RSRC2:TGID_Z_EN: 0
; COMPUTE_PGM_RSRC2:TIDIG_COMP_CNT: 0
	.text
	.p2alignl 6, 3214868480
	.fill 48, 4, 3214868480
	.type	__hip_cuid_89acafc1e5a08672,@object ; @__hip_cuid_89acafc1e5a08672
	.section	.bss,"aw",@nobits
	.globl	__hip_cuid_89acafc1e5a08672
__hip_cuid_89acafc1e5a08672:
	.byte	0                               ; 0x0
	.size	__hip_cuid_89acafc1e5a08672, 1

	.ident	"AMD clang version 19.0.0git (https://github.com/RadeonOpenCompute/llvm-project roc-6.4.0 25133 c7fe45cf4b819c5991fe208aaa96edf142730f1d)"
	.section	".note.GNU-stack","",@progbits
	.addrsig
	.addrsig_sym __hip_cuid_89acafc1e5a08672
	.amdgpu_metadata
---
amdhsa.kernels:
  - .args:
      - .actual_access:  read_only
        .address_space:  global
        .offset:         0
        .size:           8
        .value_kind:     global_buffer
      - .offset:         8
        .size:           8
        .value_kind:     by_value
      - .actual_access:  read_only
        .address_space:  global
        .offset:         16
        .size:           8
        .value_kind:     global_buffer
      - .actual_access:  read_only
        .address_space:  global
        .offset:         24
        .size:           8
        .value_kind:     global_buffer
      - .offset:         32
        .size:           8
        .value_kind:     by_value
      - .actual_access:  read_only
        .address_space:  global
        .offset:         40
        .size:           8
        .value_kind:     global_buffer
      - .actual_access:  read_only
        .address_space:  global
        .offset:         48
        .size:           8
        .value_kind:     global_buffer
      - .offset:         56
        .size:           4
        .value_kind:     by_value
      - .actual_access:  read_only
        .address_space:  global
        .offset:         64
        .size:           8
        .value_kind:     global_buffer
      - .actual_access:  read_only
        .address_space:  global
        .offset:         72
        .size:           8
        .value_kind:     global_buffer
      - .address_space:  global
        .offset:         80
        .size:           8
        .value_kind:     global_buffer
    .group_segment_fixed_size: 0
    .kernarg_segment_align: 8
    .kernarg_segment_size: 88
    .language:       OpenCL C
    .language_version:
      - 2
      - 0
    .max_flat_workgroup_size: 150
    .name:           fft_rtc_fwd_len1500_factors_5_10_10_3_wgs_150_tpt_150_halfLds_dp_ip_CI_unitstride_sbrr_R2C_dirReg
    .private_segment_fixed_size: 0
    .sgpr_count:     23
    .sgpr_spill_count: 0
    .symbol:         fft_rtc_fwd_len1500_factors_5_10_10_3_wgs_150_tpt_150_halfLds_dp_ip_CI_unitstride_sbrr_R2C_dirReg.kd
    .uniform_work_group_size: 1
    .uses_dynamic_stack: false
    .vgpr_count:     97
    .vgpr_spill_count: 0
    .wavefront_size: 32
    .workgroup_processor_mode: 1
amdhsa.target:   amdgcn-amd-amdhsa--gfx1030
amdhsa.version:
  - 1
  - 2
...

	.end_amdgpu_metadata
